;; amdgpu-corpus repo=ROCm/rocFFT kind=compiled arch=gfx1201 opt=O3
	.text
	.amdgcn_target "amdgcn-amd-amdhsa--gfx1201"
	.amdhsa_code_object_version 6
	.protected	fft_rtc_back_len1716_factors_13_2_6_11_wgs_156_tpt_156_dp_ip_CI_unitstride_sbrr_dirReg ; -- Begin function fft_rtc_back_len1716_factors_13_2_6_11_wgs_156_tpt_156_dp_ip_CI_unitstride_sbrr_dirReg
	.globl	fft_rtc_back_len1716_factors_13_2_6_11_wgs_156_tpt_156_dp_ip_CI_unitstride_sbrr_dirReg
	.p2align	8
	.type	fft_rtc_back_len1716_factors_13_2_6_11_wgs_156_tpt_156_dp_ip_CI_unitstride_sbrr_dirReg,@function
fft_rtc_back_len1716_factors_13_2_6_11_wgs_156_tpt_156_dp_ip_CI_unitstride_sbrr_dirReg: ; @fft_rtc_back_len1716_factors_13_2_6_11_wgs_156_tpt_156_dp_ip_CI_unitstride_sbrr_dirReg
; %bb.0:
	s_clause 0x2
	s_load_b128 s[4:7], s[0:1], 0x0
	s_load_b64 s[8:9], s[0:1], 0x50
	s_load_b64 s[10:11], s[0:1], 0x18
	v_mul_u32_u24_e32 v1, 0x1a5, v0
	v_mov_b32_e32 v3, 0
	s_delay_alu instid0(VALU_DEP_2) | instskip(NEXT) | instid1(VALU_DEP_1)
	v_lshrrev_b32_e32 v1, 16, v1
	v_add_nc_u32_e32 v5, ttmp9, v1
	v_mov_b32_e32 v1, 0
	v_mov_b32_e32 v2, 0
	;; [unrolled: 1-line block ×3, first 2 shown]
	s_wait_kmcnt 0x0
	v_cmp_lt_u64_e64 s2, s[6:7], 2
	s_delay_alu instid0(VALU_DEP_1)
	s_and_b32 vcc_lo, exec_lo, s2
	s_cbranch_vccnz .LBB0_8
; %bb.1:
	s_load_b64 s[2:3], s[0:1], 0x10
	v_mov_b32_e32 v1, 0
	v_mov_b32_e32 v2, 0
	s_add_nc_u64 s[12:13], s[10:11], 8
	s_mov_b64 s[14:15], 1
	s_wait_kmcnt 0x0
	s_add_nc_u64 s[16:17], s[2:3], 8
	s_mov_b32 s3, 0
.LBB0_2:                                ; =>This Inner Loop Header: Depth=1
	s_load_b64 s[18:19], s[16:17], 0x0
                                        ; implicit-def: $vgpr7_vgpr8
	s_mov_b32 s2, exec_lo
	s_wait_kmcnt 0x0
	v_or_b32_e32 v4, s19, v6
	s_delay_alu instid0(VALU_DEP_1)
	v_cmpx_ne_u64_e32 0, v[3:4]
	s_wait_alu 0xfffe
	s_xor_b32 s20, exec_lo, s2
	s_cbranch_execz .LBB0_4
; %bb.3:                                ;   in Loop: Header=BB0_2 Depth=1
	s_cvt_f32_u32 s2, s18
	s_cvt_f32_u32 s21, s19
	s_sub_nc_u64 s[24:25], 0, s[18:19]
	s_wait_alu 0xfffe
	s_delay_alu instid0(SALU_CYCLE_1) | instskip(SKIP_1) | instid1(SALU_CYCLE_2)
	s_fmamk_f32 s2, s21, 0x4f800000, s2
	s_wait_alu 0xfffe
	v_s_rcp_f32 s2, s2
	s_delay_alu instid0(TRANS32_DEP_1) | instskip(SKIP_1) | instid1(SALU_CYCLE_2)
	s_mul_f32 s2, s2, 0x5f7ffffc
	s_wait_alu 0xfffe
	s_mul_f32 s21, s2, 0x2f800000
	s_wait_alu 0xfffe
	s_delay_alu instid0(SALU_CYCLE_2) | instskip(SKIP_1) | instid1(SALU_CYCLE_2)
	s_trunc_f32 s21, s21
	s_wait_alu 0xfffe
	s_fmamk_f32 s2, s21, 0xcf800000, s2
	s_cvt_u32_f32 s23, s21
	s_wait_alu 0xfffe
	s_delay_alu instid0(SALU_CYCLE_1) | instskip(SKIP_1) | instid1(SALU_CYCLE_2)
	s_cvt_u32_f32 s22, s2
	s_wait_alu 0xfffe
	s_mul_u64 s[26:27], s[24:25], s[22:23]
	s_wait_alu 0xfffe
	s_mul_hi_u32 s29, s22, s27
	s_mul_i32 s28, s22, s27
	s_mul_hi_u32 s2, s22, s26
	s_mul_i32 s30, s23, s26
	s_wait_alu 0xfffe
	s_add_nc_u64 s[28:29], s[2:3], s[28:29]
	s_mul_hi_u32 s21, s23, s26
	s_mul_hi_u32 s31, s23, s27
	s_add_co_u32 s2, s28, s30
	s_wait_alu 0xfffe
	s_add_co_ci_u32 s2, s29, s21
	s_mul_i32 s26, s23, s27
	s_add_co_ci_u32 s27, s31, 0
	s_wait_alu 0xfffe
	s_add_nc_u64 s[26:27], s[2:3], s[26:27]
	s_wait_alu 0xfffe
	v_add_co_u32 v4, s2, s22, s26
	s_delay_alu instid0(VALU_DEP_1) | instskip(SKIP_1) | instid1(VALU_DEP_1)
	s_cmp_lg_u32 s2, 0
	s_add_co_ci_u32 s23, s23, s27
	v_readfirstlane_b32 s22, v4
	s_wait_alu 0xfffe
	s_delay_alu instid0(VALU_DEP_1)
	s_mul_u64 s[24:25], s[24:25], s[22:23]
	s_wait_alu 0xfffe
	s_mul_hi_u32 s27, s22, s25
	s_mul_i32 s26, s22, s25
	s_mul_hi_u32 s2, s22, s24
	s_mul_i32 s28, s23, s24
	s_wait_alu 0xfffe
	s_add_nc_u64 s[26:27], s[2:3], s[26:27]
	s_mul_hi_u32 s21, s23, s24
	s_mul_hi_u32 s22, s23, s25
	s_wait_alu 0xfffe
	s_add_co_u32 s2, s26, s28
	s_add_co_ci_u32 s2, s27, s21
	s_mul_i32 s24, s23, s25
	s_add_co_ci_u32 s25, s22, 0
	s_wait_alu 0xfffe
	s_add_nc_u64 s[24:25], s[2:3], s[24:25]
	s_wait_alu 0xfffe
	v_add_co_u32 v4, s2, v4, s24
	s_delay_alu instid0(VALU_DEP_1) | instskip(SKIP_1) | instid1(VALU_DEP_1)
	s_cmp_lg_u32 s2, 0
	s_add_co_ci_u32 s2, s23, s25
	v_mul_hi_u32 v13, v5, v4
	s_wait_alu 0xfffe
	v_mad_co_u64_u32 v[7:8], null, v5, s2, 0
	v_mad_co_u64_u32 v[9:10], null, v6, v4, 0
	;; [unrolled: 1-line block ×3, first 2 shown]
	s_delay_alu instid0(VALU_DEP_3) | instskip(SKIP_1) | instid1(VALU_DEP_4)
	v_add_co_u32 v4, vcc_lo, v13, v7
	s_wait_alu 0xfffd
	v_add_co_ci_u32_e32 v7, vcc_lo, 0, v8, vcc_lo
	s_delay_alu instid0(VALU_DEP_2) | instskip(SKIP_1) | instid1(VALU_DEP_2)
	v_add_co_u32 v4, vcc_lo, v4, v9
	s_wait_alu 0xfffd
	v_add_co_ci_u32_e32 v4, vcc_lo, v7, v10, vcc_lo
	s_wait_alu 0xfffd
	v_add_co_ci_u32_e32 v7, vcc_lo, 0, v12, vcc_lo
	s_delay_alu instid0(VALU_DEP_2) | instskip(SKIP_1) | instid1(VALU_DEP_2)
	v_add_co_u32 v4, vcc_lo, v4, v11
	s_wait_alu 0xfffd
	v_add_co_ci_u32_e32 v9, vcc_lo, 0, v7, vcc_lo
	s_delay_alu instid0(VALU_DEP_2) | instskip(SKIP_1) | instid1(VALU_DEP_3)
	v_mul_lo_u32 v10, s19, v4
	v_mad_co_u64_u32 v[7:8], null, s18, v4, 0
	v_mul_lo_u32 v11, s18, v9
	s_delay_alu instid0(VALU_DEP_2) | instskip(NEXT) | instid1(VALU_DEP_2)
	v_sub_co_u32 v7, vcc_lo, v5, v7
	v_add3_u32 v8, v8, v11, v10
	s_delay_alu instid0(VALU_DEP_1) | instskip(SKIP_1) | instid1(VALU_DEP_1)
	v_sub_nc_u32_e32 v10, v6, v8
	s_wait_alu 0xfffd
	v_subrev_co_ci_u32_e64 v10, s2, s19, v10, vcc_lo
	v_add_co_u32 v11, s2, v4, 2
	s_wait_alu 0xf1ff
	v_add_co_ci_u32_e64 v12, s2, 0, v9, s2
	v_sub_co_u32 v13, s2, v7, s18
	v_sub_co_ci_u32_e32 v8, vcc_lo, v6, v8, vcc_lo
	s_wait_alu 0xf1ff
	v_subrev_co_ci_u32_e64 v10, s2, 0, v10, s2
	s_delay_alu instid0(VALU_DEP_3) | instskip(NEXT) | instid1(VALU_DEP_3)
	v_cmp_le_u32_e32 vcc_lo, s18, v13
	v_cmp_eq_u32_e64 s2, s19, v8
	s_wait_alu 0xfffd
	v_cndmask_b32_e64 v13, 0, -1, vcc_lo
	v_cmp_le_u32_e32 vcc_lo, s19, v10
	s_wait_alu 0xfffd
	v_cndmask_b32_e64 v14, 0, -1, vcc_lo
	v_cmp_le_u32_e32 vcc_lo, s18, v7
	;; [unrolled: 3-line block ×3, first 2 shown]
	s_wait_alu 0xfffd
	v_cndmask_b32_e64 v15, 0, -1, vcc_lo
	v_cmp_eq_u32_e32 vcc_lo, s19, v10
	s_wait_alu 0xf1ff
	s_delay_alu instid0(VALU_DEP_2)
	v_cndmask_b32_e64 v7, v15, v7, s2
	s_wait_alu 0xfffd
	v_cndmask_b32_e32 v10, v14, v13, vcc_lo
	v_add_co_u32 v13, vcc_lo, v4, 1
	s_wait_alu 0xfffd
	v_add_co_ci_u32_e32 v14, vcc_lo, 0, v9, vcc_lo
	s_delay_alu instid0(VALU_DEP_3) | instskip(SKIP_2) | instid1(VALU_DEP_3)
	v_cmp_ne_u32_e32 vcc_lo, 0, v10
	s_wait_alu 0xfffd
	v_cndmask_b32_e32 v10, v13, v11, vcc_lo
	v_cndmask_b32_e32 v8, v14, v12, vcc_lo
	v_cmp_ne_u32_e32 vcc_lo, 0, v7
	s_wait_alu 0xfffd
	s_delay_alu instid0(VALU_DEP_2)
	v_dual_cndmask_b32 v7, v4, v10 :: v_dual_cndmask_b32 v8, v9, v8
.LBB0_4:                                ;   in Loop: Header=BB0_2 Depth=1
	s_wait_alu 0xfffe
	s_and_not1_saveexec_b32 s2, s20
	s_cbranch_execz .LBB0_6
; %bb.5:                                ;   in Loop: Header=BB0_2 Depth=1
	v_cvt_f32_u32_e32 v4, s18
	s_sub_co_i32 s20, 0, s18
	s_delay_alu instid0(VALU_DEP_1) | instskip(NEXT) | instid1(TRANS32_DEP_1)
	v_rcp_iflag_f32_e32 v4, v4
	v_mul_f32_e32 v4, 0x4f7ffffe, v4
	s_delay_alu instid0(VALU_DEP_1) | instskip(SKIP_1) | instid1(VALU_DEP_1)
	v_cvt_u32_f32_e32 v4, v4
	s_wait_alu 0xfffe
	v_mul_lo_u32 v7, s20, v4
	s_delay_alu instid0(VALU_DEP_1) | instskip(NEXT) | instid1(VALU_DEP_1)
	v_mul_hi_u32 v7, v4, v7
	v_add_nc_u32_e32 v4, v4, v7
	s_delay_alu instid0(VALU_DEP_1) | instskip(NEXT) | instid1(VALU_DEP_1)
	v_mul_hi_u32 v4, v5, v4
	v_mul_lo_u32 v7, v4, s18
	v_add_nc_u32_e32 v8, 1, v4
	s_delay_alu instid0(VALU_DEP_2) | instskip(NEXT) | instid1(VALU_DEP_1)
	v_sub_nc_u32_e32 v7, v5, v7
	v_subrev_nc_u32_e32 v9, s18, v7
	v_cmp_le_u32_e32 vcc_lo, s18, v7
	s_wait_alu 0xfffd
	s_delay_alu instid0(VALU_DEP_2) | instskip(NEXT) | instid1(VALU_DEP_1)
	v_dual_cndmask_b32 v7, v7, v9 :: v_dual_cndmask_b32 v4, v4, v8
	v_cmp_le_u32_e32 vcc_lo, s18, v7
	s_delay_alu instid0(VALU_DEP_2) | instskip(SKIP_1) | instid1(VALU_DEP_1)
	v_add_nc_u32_e32 v8, 1, v4
	s_wait_alu 0xfffd
	v_dual_cndmask_b32 v7, v4, v8 :: v_dual_mov_b32 v8, v3
.LBB0_6:                                ;   in Loop: Header=BB0_2 Depth=1
	s_wait_alu 0xfffe
	s_or_b32 exec_lo, exec_lo, s2
	s_load_b64 s[20:21], s[12:13], 0x0
	s_delay_alu instid0(VALU_DEP_1)
	v_mul_lo_u32 v4, v8, s18
	v_mul_lo_u32 v11, v7, s19
	v_mad_co_u64_u32 v[9:10], null, v7, s18, 0
	s_add_nc_u64 s[14:15], s[14:15], 1
	s_add_nc_u64 s[12:13], s[12:13], 8
	s_wait_alu 0xfffe
	v_cmp_ge_u64_e64 s2, s[14:15], s[6:7]
	s_add_nc_u64 s[16:17], s[16:17], 8
	s_delay_alu instid0(VALU_DEP_2) | instskip(NEXT) | instid1(VALU_DEP_3)
	v_add3_u32 v4, v10, v11, v4
	v_sub_co_u32 v5, vcc_lo, v5, v9
	s_wait_alu 0xfffd
	s_delay_alu instid0(VALU_DEP_2) | instskip(SKIP_3) | instid1(VALU_DEP_2)
	v_sub_co_ci_u32_e32 v4, vcc_lo, v6, v4, vcc_lo
	s_and_b32 vcc_lo, exec_lo, s2
	s_wait_kmcnt 0x0
	v_mul_lo_u32 v6, s21, v5
	v_mul_lo_u32 v4, s20, v4
	v_mad_co_u64_u32 v[1:2], null, s20, v5, v[1:2]
	s_delay_alu instid0(VALU_DEP_1)
	v_add3_u32 v2, v6, v2, v4
	s_wait_alu 0xfffe
	s_cbranch_vccnz .LBB0_9
; %bb.7:                                ;   in Loop: Header=BB0_2 Depth=1
	v_dual_mov_b32 v5, v7 :: v_dual_mov_b32 v6, v8
	s_branch .LBB0_2
.LBB0_8:
	v_dual_mov_b32 v8, v6 :: v_dual_mov_b32 v7, v5
.LBB0_9:
	s_lshl_b64 s[2:3], s[6:7], 3
	v_mul_hi_u32 v3, 0x1a41a42, v0
	s_wait_alu 0xfffe
	s_add_nc_u64 s[2:3], s[10:11], s[2:3]
	v_mov_b32_e32 v62, 0
	s_load_b64 s[2:3], s[2:3], 0x0
	s_load_b64 s[0:1], s[0:1], 0x20
                                        ; implicit-def: $vgpr10_vgpr11
                                        ; implicit-def: $vgpr14_vgpr15
                                        ; implicit-def: $vgpr18_vgpr19
                                        ; implicit-def: $vgpr26_vgpr27
                                        ; implicit-def: $vgpr34_vgpr35
                                        ; implicit-def: $vgpr38_vgpr39
                                        ; implicit-def: $vgpr42_vgpr43
                                        ; implicit-def: $vgpr54_vgpr55
                                        ; implicit-def: $vgpr58_vgpr59
                                        ; implicit-def: $vgpr50_vgpr51
                                        ; implicit-def: $vgpr46_vgpr47
                                        ; implicit-def: $vgpr30_vgpr31
	s_wait_kmcnt 0x0
	v_mul_lo_u32 v4, s2, v8
	v_mul_lo_u32 v5, s3, v7
	v_mad_co_u64_u32 v[60:61], null, s2, v7, v[1:2]
	v_mul_u32_u24_e32 v1, 0x9c, v3
	v_cmp_gt_u64_e32 vcc_lo, s[0:1], v[7:8]
                                        ; implicit-def: $vgpr6_vgpr7
	s_delay_alu instid0(VALU_DEP_2) | instskip(NEXT) | instid1(VALU_DEP_4)
	v_sub_nc_u32_e32 v63, v0, v1
	v_add3_u32 v61, v5, v61, v4
	s_and_saveexec_b32 s1, vcc_lo
	s_cbranch_execz .LBB0_13
; %bb.10:
	s_mov_b32 s2, exec_lo
                                        ; implicit-def: $vgpr28_vgpr29
                                        ; implicit-def: $vgpr44_vgpr45
                                        ; implicit-def: $vgpr48_vgpr49
                                        ; implicit-def: $vgpr56_vgpr57
                                        ; implicit-def: $vgpr52_vgpr53
                                        ; implicit-def: $vgpr40_vgpr41
                                        ; implicit-def: $vgpr36_vgpr37
                                        ; implicit-def: $vgpr32_vgpr33
                                        ; implicit-def: $vgpr24_vgpr25
                                        ; implicit-def: $vgpr16_vgpr17
                                        ; implicit-def: $vgpr12_vgpr13
                                        ; implicit-def: $vgpr8_vgpr9
                                        ; implicit-def: $vgpr4_vgpr5
	v_cmpx_gt_u32_e32 0x84, v63
; %bb.11:
	v_mov_b32_e32 v64, 0
	v_lshlrev_b64_e32 v[0:1], 4, v[60:61]
	s_delay_alu instid0(VALU_DEP_2) | instskip(NEXT) | instid1(VALU_DEP_2)
	v_lshlrev_b64_e32 v[2:3], 4, v[63:64]
	v_add_co_u32 v0, s0, s8, v0
	s_wait_alu 0xf1ff
	s_delay_alu instid0(VALU_DEP_3) | instskip(NEXT) | instid1(VALU_DEP_2)
	v_add_co_ci_u32_e64 v1, s0, s9, v1, s0
	v_add_co_u32 v0, s0, v0, v2
	s_wait_alu 0xf1ff
	s_delay_alu instid0(VALU_DEP_2)
	v_add_co_ci_u32_e64 v1, s0, v1, v3, s0
	s_clause 0xc
	global_load_b128 v[28:31], v[0:1], off
	global_load_b128 v[44:47], v[0:1], off offset:2112
	global_load_b128 v[48:51], v[0:1], off offset:4224
	;; [unrolled: 1-line block ×12, first 2 shown]
; %bb.12:
	s_wait_alu 0xfffe
	s_or_b32 exec_lo, exec_lo, s2
	v_mov_b32_e32 v62, v63
.LBB0_13:
	s_wait_alu 0xfffe
	s_or_b32 exec_lo, exec_lo, s1
	s_wait_loadcnt 0x0
	v_add_f64_e64 v[94:95], v[46:47], -v[6:7]
	v_add_f64_e64 v[92:93], v[44:45], -v[4:5]
	s_mov_b32 s2, 0x42a4c3d2
	s_mov_b32 s6, 0x66966769
	;; [unrolled: 1-line block ×4, first 2 shown]
	v_add_f64_e32 v[134:135], v[4:5], v[44:45]
	v_add_f64_e32 v[68:69], v[6:7], v[46:47]
	v_add_f64_e64 v[64:65], v[50:51], -v[10:11]
	v_add_f64_e64 v[112:113], v[48:49], -v[8:9]
	s_mov_b32 s10, 0x1ea71119
	s_mov_b32 s14, 0x2ef20147
	;; [unrolled: 1-line block ×8, first 2 shown]
	v_add_f64_e32 v[114:115], v[8:9], v[48:49]
	v_add_f64_e32 v[102:103], v[10:11], v[50:51]
	v_add_f64_e64 v[98:99], v[58:59], -v[14:15]
	v_add_f64_e64 v[158:159], v[56:57], -v[12:13]
	s_mov_b32 s18, 0xb2365da1
	s_mov_b32 s16, 0x93053d00
	;; [unrolled: 1-line block ×5, first 2 shown]
	s_wait_alu 0xfffe
	s_mov_b32 s20, s14
	v_add_f64_e32 v[146:147], v[12:13], v[56:57]
	v_add_f64_e32 v[110:111], v[14:15], v[58:59]
	v_add_f64_e64 v[104:105], v[54:55], -v[18:19]
	v_add_f64_e64 v[96:97], v[52:53], -v[16:17]
	s_mov_b32 s24, 0x24c2f84
	s_mov_b32 s34, 0x4267c47c
	;; [unrolled: 1-line block ×4, first 2 shown]
	v_add_f64_e32 v[154:155], v[16:17], v[52:53]
	v_add_f64_e32 v[86:87], v[18:19], v[54:55]
	v_mul_f64_e32 v[128:129], s[2:3], v[94:95]
	v_mul_f64_e32 v[130:131], s[2:3], v[92:93]
	;; [unrolled: 1-line block ×4, first 2 shown]
	v_add_f64_e64 v[72:73], v[42:43], -v[26:27]
	v_add_f64_e64 v[84:85], v[40:41], -v[24:25]
	s_mov_b32 s28, 0xd0032e0c
	s_mov_b32 s30, 0xe00740e9
	v_mul_f64_e32 v[106:107], s[14:15], v[64:65]
	v_mul_f64_e32 v[108:109], s[14:15], v[112:113]
	;; [unrolled: 1-line block ×4, first 2 shown]
	s_mov_b32 s29, 0xbfe7f3cc
	s_mov_b32 s27, 0x3fefc445
	;; [unrolled: 1-line block ×4, first 2 shown]
	v_add_f64_e32 v[100:101], v[24:25], v[40:41]
	v_add_f64_e32 v[80:81], v[26:27], v[42:43]
	v_add_f64_e64 v[88:89], v[36:37], -v[32:33]
	s_mov_b32 s37, 0xbfe5384d
	v_mul_f64_e32 v[118:119], s[12:13], v[98:99]
	v_mul_f64_e32 v[120:121], s[12:13], v[158:159]
	s_wait_alu 0xfffe
	v_mul_f64_e32 v[122:123], s[20:21], v[98:99]
	v_mul_f64_e32 v[150:151], s[20:21], v[158:159]
	s_mov_b32 s36, s24
	s_mov_b32 s33, exec_lo
	v_mul_f64_e32 v[124:125], s[24:25], v[104:105]
	v_mul_f64_e32 v[126:127], s[24:25], v[96:97]
	;; [unrolled: 1-line block ×4, first 2 shown]
	v_fma_f64 v[0:1], v[134:135], s[10:11], -v[128:129]
	v_fma_f64 v[2:3], v[68:69], s[10:11], v[130:131]
	v_fma_f64 v[20:21], v[134:135], s[22:23], -v[144:145]
	v_fma_f64 v[22:23], v[68:69], s[22:23], v[148:149]
	v_mul_f64_e32 v[136:137], s[26:27], v[72:73]
	v_mul_f64_e32 v[138:139], s[26:27], v[84:85]
	;; [unrolled: 1-line block ×4, first 2 shown]
	v_fma_f64 v[66:67], v[114:115], s[18:19], -v[106:107]
	v_fma_f64 v[70:71], v[102:103], s[18:19], v[108:109]
	v_fma_f64 v[74:75], v[114:115], s[16:17], -v[116:117]
	v_fma_f64 v[76:77], v[102:103], s[16:17], v[140:141]
	;; [unrolled: 2-line block ×6, first 2 shown]
	v_add_f64_e32 v[0:1], v[28:29], v[0:1]
	v_add_f64_e32 v[2:3], v[30:31], v[2:3]
	;; [unrolled: 1-line block ×4, first 2 shown]
	v_fma_f64 v[170:171], v[80:81], s[22:23], v[138:139]
	v_fma_f64 v[172:173], v[100:101], s[10:11], -v[142:143]
	v_fma_f64 v[174:175], v[80:81], s[10:11], v[156:157]
	v_add_f64_e32 v[0:1], v[66:67], v[0:1]
	v_add_f64_e32 v[2:3], v[70:71], v[2:3]
	;; [unrolled: 1-line block ×4, first 2 shown]
	v_add_f64_e64 v[66:67], v[38:39], -v[34:35]
	v_add_f64_e32 v[70:71], v[34:35], v[38:39]
	v_mul_f64_e32 v[76:77], s[34:35], v[88:89]
	v_add_f64_e32 v[0:1], v[78:79], v[0:1]
	v_add_f64_e32 v[2:3], v[82:83], v[2:3]
	;; [unrolled: 1-line block ×5, first 2 shown]
	v_mul_f64_e32 v[74:75], s[34:35], v[66:67]
	v_mul_f64_e32 v[78:79], s[36:37], v[66:67]
	;; [unrolled: 1-line block ×3, first 2 shown]
	v_fma_f64 v[160:161], v[100:101], s[22:23], -v[136:137]
	v_add_f64_e32 v[0:1], v[162:163], v[0:1]
	v_add_f64_e32 v[2:3], v[164:165], v[2:3]
	v_add_f64_e32 v[20:21], v[166:167], v[20:21]
	v_add_f64_e32 v[22:23], v[168:169], v[22:23]
	v_fma_f64 v[164:165], v[70:71], s[30:31], v[76:77]
	v_fma_f64 v[162:163], v[90:91], s[30:31], -v[74:75]
	v_fma_f64 v[166:167], v[90:91], s[28:29], -v[78:79]
	v_fma_f64 v[168:169], v[70:71], s[28:29], v[82:83]
	v_add_f64_e32 v[0:1], v[160:161], v[0:1]
	v_add_f64_e32 v[2:3], v[170:171], v[2:3]
	v_add_f64_e32 v[160:161], v[172:173], v[20:21]
	v_add_f64_e32 v[170:171], v[174:175], v[22:23]
	s_delay_alu instid0(VALU_DEP_4) | instskip(NEXT) | instid1(VALU_DEP_4)
	v_add_f64_e32 v[20:21], v[162:163], v[0:1]
	v_add_f64_e32 v[22:23], v[164:165], v[2:3]
	s_delay_alu instid0(VALU_DEP_4) | instskip(NEXT) | instid1(VALU_DEP_4)
	v_add_f64_e32 v[0:1], v[166:167], v[160:161]
	v_add_f64_e32 v[2:3], v[168:169], v[170:171]
	v_cmpx_gt_u32_e32 0x84, v63
	s_cbranch_execz .LBB0_15
; %bb.14:
	v_add_f64_e32 v[46:47], v[46:47], v[30:31]
	v_add_f64_e32 v[44:45], v[44:45], v[28:29]
	s_mov_b32 s39, 0xbfddbe06
	s_mov_b32 s38, s34
	v_mul_f64_e32 v[160:161], s[18:19], v[134:135]
	v_mul_f64_e32 v[162:163], s[22:23], v[134:135]
	;; [unrolled: 1-line block ×15, first 2 shown]
	s_mov_b32 s1, 0x3fcea1e5
	s_mov_b32 s0, s12
	v_mul_f64_e32 v[184:185], s[22:23], v[80:81]
	v_mul_f64_e32 v[186:187], s[28:29], v[86:87]
	;; [unrolled: 1-line block ×14, first 2 shown]
	s_mov_b32 s41, 0x3fea55e2
	s_mov_b32 s40, s2
	v_add_f64_e32 v[46:47], v[50:51], v[46:47]
	v_add_f64_e32 v[44:45], v[48:49], v[44:45]
	v_mul_f64_e32 v[48:49], s[12:13], v[92:93]
	v_mul_f64_e32 v[50:51], s[16:17], v[134:135]
	v_add_f64_e32 v[144:145], v[144:145], v[162:163]
	v_add_f64_e32 v[128:129], v[128:129], v[164:165]
	v_add_f64_e64 v[130:131], v[166:167], -v[130:131]
	v_fma_f64 v[166:167], v[94:95], s[20:21], v[160:161]
	v_fma_f64 v[160:161], v[94:95], s[14:15], v[160:161]
	v_add_f64_e64 v[156:157], v[168:169], -v[156:157]
	v_mul_f64_e32 v[168:169], s[10:11], v[146:147]
	v_add_f64_e64 v[152:153], v[174:175], -v[152:153]
	v_mul_f64_e32 v[174:175], s[30:31], v[146:147]
	;; [unrolled: 2-line block ×4, first 2 shown]
	v_add_f64_e32 v[132:133], v[132:133], v[178:179]
	v_add_f64_e32 v[122:123], v[122:123], v[180:181]
	;; [unrolled: 1-line block ×3, first 2 shown]
	v_add_f64_e64 v[120:121], v[190:191], -v[120:121]
	v_add_f64_e64 v[108:109], v[188:189], -v[108:109]
	v_fma_f64 v[188:189], v[110:111], s[10:11], v[198:199]
	v_fma_f64 v[190:191], v[110:111], s[10:11], -v[198:199]
	v_add_f64_e32 v[142:143], v[142:143], v[176:177]
	v_mul_f64_e32 v[176:177], s[28:29], v[114:115]
	v_mul_f64_e32 v[114:115], s[10:11], v[114:115]
	v_add_f64_e64 v[138:139], v[184:185], -v[138:139]
	v_add_f64_e64 v[126:127], v[186:187], -v[126:127]
	v_add_f64_e32 v[136:137], v[136:137], v[194:195]
	v_fma_f64 v[184:185], v[110:111], s[28:29], v[196:197]
	v_fma_f64 v[186:187], v[110:111], s[28:29], -v[196:197]
	v_add_f64_e32 v[124:125], v[124:125], v[192:193]
	v_add_f64_e32 v[118:119], v[118:119], v[200:201]
	v_fma_f64 v[192:193], v[110:111], s[30:31], v[202:203]
	v_fma_f64 v[194:195], v[110:111], s[30:31], -v[202:203]
	v_add_f64_e32 v[106:107], v[106:107], v[204:205]
	v_add_f64_e32 v[46:47], v[58:59], v[46:47]
	;; [unrolled: 1-line block ×3, first 2 shown]
	v_mul_f64_e32 v[56:57], s[36:37], v[92:93]
	v_mul_f64_e32 v[58:59], s[28:29], v[134:135]
	;; [unrolled: 1-line block ×3, first 2 shown]
	v_fma_f64 v[178:179], v[68:69], s[16:17], v[48:49]
	v_fma_f64 v[48:49], v[68:69], s[16:17], -v[48:49]
	v_fma_f64 v[196:197], v[110:111], s[22:23], v[158:159]
	v_fma_f64 v[110:111], v[110:111], s[22:23], -v[158:159]
	v_fma_f64 v[158:159], v[102:103], s[30:31], v[206:207]
	v_fma_f64 v[200:201], v[102:103], s[22:23], v[208:209]
	v_fma_f64 v[202:203], v[102:103], s[22:23], -v[208:209]
	v_fma_f64 v[204:205], v[102:103], s[28:29], v[210:211]
	v_add_f64_e32 v[166:167], v[28:29], v[166:167]
	v_add_f64_e32 v[160:161], v[28:29], v[160:161]
	;; [unrolled: 1-line block ×5, first 2 shown]
	v_fma_f64 v[214:215], v[64:65], s[36:37], v[176:177]
	v_fma_f64 v[176:177], v[64:65], s[24:25], v[176:177]
	;; [unrolled: 1-line block ×3, first 2 shown]
	v_add_f64_e32 v[46:47], v[54:55], v[46:47]
	v_add_f64_e32 v[44:45], v[52:53], v[44:45]
	v_mul_f64_e32 v[52:53], s[22:23], v[68:69]
	v_mul_f64_e32 v[54:55], s[14:15], v[92:93]
	;; [unrolled: 1-line block ×3, first 2 shown]
	v_fma_f64 v[162:163], v[94:95], s[24:25], v[58:59]
	v_fma_f64 v[58:59], v[94:95], s[36:37], v[58:59]
	;; [unrolled: 1-line block ×4, first 2 shown]
	v_fma_f64 v[56:57], v[68:69], s[28:29], -v[56:57]
	v_add_f64_e32 v[178:179], v[30:31], v[178:179]
	v_add_f64_e32 v[48:49], v[30:31], v[48:49]
	;; [unrolled: 1-line block ×5, first 2 shown]
	v_mul_f64_e32 v[144:145], s[14:15], v[88:89]
	v_mul_f64_e32 v[130:131], s[18:19], v[90:91]
	;; [unrolled: 1-line block ×3, first 2 shown]
	v_add_f64_e32 v[166:167], v[214:215], v[166:167]
	v_add_f64_e32 v[160:161], v[176:177], v[160:161]
	v_mul_f64_e32 v[176:177], s[22:23], v[90:91]
	v_add_f64_e32 v[42:43], v[42:43], v[46:47]
	v_add_f64_e32 v[40:41], v[40:41], v[44:45]
	v_mul_f64_e32 v[44:45], s[16:17], v[154:155]
	v_mul_f64_e32 v[46:47], s[22:23], v[154:155]
	;; [unrolled: 1-line block ×3, first 2 shown]
	v_add_f64_e64 v[52:53], v[52:53], -v[148:149]
	s_wait_alu 0xfffe
	v_fma_f64 v[148:149], v[94:95], s[0:1], v[50:51]
	v_fma_f64 v[50:51], v[94:95], s[12:13], v[50:51]
	;; [unrolled: 1-line block ×3, first 2 shown]
	v_mul_f64_e32 v[134:135], s[28:29], v[146:147]
	v_mul_f64_e32 v[146:147], s[22:23], v[146:147]
	v_fma_f64 v[182:183], v[68:69], s[18:19], v[54:55]
	v_fma_f64 v[54:55], v[68:69], s[18:19], -v[54:55]
	v_fma_f64 v[198:199], v[68:69], s[30:31], v[92:93]
	v_fma_f64 v[68:69], v[68:69], s[30:31], -v[92:93]
	v_fma_f64 v[92:93], v[102:103], s[30:31], -v[206:207]
	;; [unrolled: 1-line block ×3, first 2 shown]
	v_add_f64_e32 v[180:181], v[30:31], v[180:181]
	v_add_f64_e32 v[162:163], v[28:29], v[162:163]
	;; [unrolled: 1-line block ×11, first 2 shown]
	v_fma_f64 v[40:41], v[102:103], s[10:11], v[112:113]
	v_fma_f64 v[42:43], v[102:103], s[10:11], -v[112:113]
	v_fma_f64 v[102:103], v[104:105], s[2:3], v[212:213]
	v_fma_f64 v[112:113], v[104:105], s[40:41], v[212:213]
	;; [unrolled: 1-line block ×9, first 2 shown]
	v_add_f64_e32 v[148:149], v[28:29], v[148:149]
	v_add_f64_e32 v[50:51], v[28:29], v[50:51]
	;; [unrolled: 1-line block ×8, first 2 shown]
	v_fma_f64 v[68:69], v[64:65], s[38:39], v[172:173]
	v_fma_f64 v[134:135], v[98:99], s[36:37], v[134:135]
	;; [unrolled: 1-line block ×5, first 2 shown]
	v_add_f64_e32 v[48:49], v[92:93], v[48:49]
	v_mul_f64_e32 v[92:93], s[14:15], v[96:97]
	v_add_f64_e32 v[56:57], v[202:203], v[56:57]
	v_add_f64_e32 v[164:165], v[216:217], v[164:165]
	v_mul_f64_e32 v[202:203], s[36:37], v[84:85]
	v_add_f64_e32 v[34:35], v[34:35], v[38:39]
	v_add_f64_e32 v[32:33], v[32:33], v[36:37]
	v_fma_f64 v[36:37], v[98:99], s[38:39], v[174:175]
	v_fma_f64 v[38:39], v[98:99], s[34:35], v[174:175]
	;; [unrolled: 1-line block ×7, first 2 shown]
	v_add_f64_e32 v[114:115], v[158:159], v[178:179]
	v_mul_f64_e32 v[158:159], s[40:41], v[96:97]
	v_mul_f64_e32 v[178:179], s[18:19], v[100:101]
	v_add_f64_e32 v[182:183], v[204:205], v[182:183]
	v_add_f64_e32 v[54:55], v[206:207], v[54:55]
	;; [unrolled: 1-line block ×3, first 2 shown]
	v_mul_f64_e32 v[140:141], s[30:31], v[90:91]
	v_mul_f64_e32 v[204:205], s[26:27], v[88:89]
	v_add_f64_e32 v[30:31], v[42:43], v[30:31]
	v_add_f64_e32 v[68:69], v[68:69], v[148:149]
	v_mul_f64_e32 v[148:149], s[6:7], v[96:97]
	v_mul_f64_e32 v[96:97], s[0:1], v[96:97]
	;; [unrolled: 1-line block ×3, first 2 shown]
	v_add_f64_e32 v[50:51], v[172:173], v[50:51]
	v_add_f64_e32 v[172:173], v[200:201], v[180:181]
	v_mul_f64_e32 v[180:181], s[16:17], v[100:101]
	v_mul_f64_e32 v[200:201], s[34:35], v[84:85]
	v_add_f64_e32 v[56:57], v[190:191], v[56:57]
	v_add_f64_e32 v[48:49], v[186:187], v[48:49]
	v_mul_f64_e32 v[90:91], s[16:17], v[90:91]
	v_add_f64_e32 v[26:27], v[26:27], v[34:35]
	v_add_f64_e32 v[24:25], v[24:25], v[32:33]
	;; [unrolled: 1-line block ×3, first 2 shown]
	v_fma_f64 v[40:41], v[86:87], s[18:19], v[92:93]
	v_fma_f64 v[92:93], v[86:87], s[18:19], -v[92:93]
	v_add_f64_e32 v[38:39], v[38:39], v[160:161]
	v_add_f64_e32 v[146:147], v[146:147], v[162:163]
	v_add_f64_e32 v[58:59], v[170:171], v[58:59]
	v_add_f64_e32 v[28:29], v[64:65], v[28:29]
	v_mul_f64_e32 v[162:163], s[30:31], v[100:101]
	v_mul_f64_e32 v[100:101], s[28:29], v[100:101]
	;; [unrolled: 1-line block ×3, first 2 shown]
	v_fma_f64 v[94:95], v[86:87], s[10:11], v[158:159]
	v_mul_f64_e32 v[84:85], s[0:1], v[84:85]
	v_add_f64_e32 v[114:115], v[184:185], v[114:115]
	v_add_f64_e32 v[118:119], v[192:193], v[182:183]
	;; [unrolled: 1-line block ×8, first 2 shown]
	v_fma_f64 v[34:35], v[86:87], s[22:23], -v[148:149]
	v_fma_f64 v[42:43], v[86:87], s[22:23], v[148:149]
	v_fma_f64 v[148:149], v[86:87], s[10:11], -v[158:159]
	v_fma_f64 v[158:159], v[86:87], s[16:17], v[96:97]
	v_fma_f64 v[86:87], v[86:87], s[16:17], -v[96:97]
	v_add_f64_e32 v[50:51], v[134:135], v[50:51]
	v_add_f64_e32 v[134:135], v[188:189], v[172:173]
	v_mul_f64_e32 v[96:97], s[30:31], v[70:71]
	v_mul_f64_e32 v[64:65], s[28:29], v[70:71]
	;; [unrolled: 1-line block ×4, first 2 shown]
	v_fma_f64 v[154:155], v[72:73], s[20:21], v[178:179]
	v_fma_f64 v[178:179], v[72:73], s[14:15], v[178:179]
	;; [unrolled: 1-line block ×3, first 2 shown]
	v_fma_f64 v[150:151], v[80:81], s[30:31], -v[200:201]
	v_fma_f64 v[160:161], v[80:81], s[28:29], v[202:203]
	v_add_f64_e32 v[18:19], v[18:19], v[26:27]
	v_add_f64_e32 v[16:17], v[16:17], v[24:25]
	;; [unrolled: 1-line block ×3, first 2 shown]
	v_fma_f64 v[26:27], v[72:73], s[12:13], v[180:181]
	v_fma_f64 v[32:33], v[72:73], s[0:1], v[180:181]
	v_fma_f64 v[164:165], v[80:81], s[28:29], -v[202:203]
	v_add_f64_e32 v[146:147], v[198:199], v[146:147]
	v_add_f64_e32 v[58:59], v[168:169], v[58:59]
	;; [unrolled: 1-line block ×3, first 2 shown]
	v_fma_f64 v[186:187], v[72:73], s[38:39], v[162:163]
	v_fma_f64 v[162:163], v[72:73], s[34:35], v[162:163]
	;; [unrolled: 1-line block ×5, first 2 shown]
	v_fma_f64 v[110:111], v[80:81], s[18:19], -v[170:171]
	v_fma_f64 v[174:175], v[80:81], s[16:17], v[84:85]
	v_fma_f64 v[80:81], v[80:81], s[16:17], -v[84:85]
	v_add_f64_e32 v[52:53], v[152:153], v[52:53]
	v_add_f64_e32 v[38:39], v[46:47], v[38:39]
	;; [unrolled: 1-line block ×15, first 2 shown]
	v_add_f64_e64 v[76:77], v[96:97], -v[76:77]
	v_add_f64_e32 v[74:75], v[74:75], v[140:141]
	v_fma_f64 v[166:167], v[70:71], s[22:23], v[204:205]
	v_fma_f64 v[168:169], v[66:67], s[6:7], v[176:177]
	v_fma_f64 v[170:171], v[70:71], s[22:23], -v[204:205]
	v_fma_f64 v[172:173], v[66:67], s[26:27], v[176:177]
	v_add_f64_e32 v[14:15], v[14:15], v[18:19]
	v_add_f64_e32 v[12:13], v[12:13], v[16:17]
	;; [unrolled: 1-line block ×3, first 2 shown]
	v_fma_f64 v[18:19], v[70:71], s[18:19], v[144:145]
	v_fma_f64 v[24:25], v[66:67], s[20:21], v[130:131]
	v_fma_f64 v[40:41], v[70:71], s[18:19], -v[144:145]
	v_add_f64_e32 v[102:103], v[208:209], v[146:147]
	v_add_f64_e32 v[44:45], v[44:45], v[58:59]
	;; [unrolled: 1-line block ×4, first 2 shown]
	v_fma_f64 v[92:93], v[66:67], s[14:15], v[130:131]
	v_fma_f64 v[104:105], v[66:67], s[2:3], v[206:207]
	;; [unrolled: 1-line block ×3, first 2 shown]
	v_add_f64_e64 v[64:65], v[64:65], -v[82:83]
	v_fma_f64 v[82:83], v[70:71], s[16:17], v[184:185]
	v_fma_f64 v[96:97], v[66:67], s[0:1], v[90:91]
	v_fma_f64 v[108:109], v[70:71], s[16:17], -v[184:185]
	v_fma_f64 v[66:67], v[66:67], s[12:13], v[90:91]
	v_fma_f64 v[90:91], v[70:71], s[10:11], v[88:89]
	v_fma_f64 v[70:71], v[70:71], s[10:11], -v[88:89]
	v_add_f64_e32 v[52:53], v[156:157], v[52:53]
	v_add_f64_e32 v[84:85], v[100:101], v[84:85]
	;; [unrolled: 1-line block ×36, first 2 shown]
	v_mad_u32_u24 v52, 0xd0, v63, 0
	v_add_f64_e32 v[4:5], v[4:5], v[110:111]
	v_add_f64_e32 v[16:17], v[24:25], v[94:95]
	;; [unrolled: 1-line block ×8, first 2 shown]
	ds_store_b128 v52, v[0:3] offset:160
	ds_store_b128 v52, v[20:23] offset:176
	ds_store_b128 v52, v[36:39] offset:32
	ds_store_b128 v52, v[32:35] offset:48
	ds_store_b128 v52, v[28:31] offset:64
	ds_store_b128 v52, v[24:27] offset:80
	ds_store_b128 v52, v[12:15] offset:96
	ds_store_b128 v52, v[8:11] offset:112
	ds_store_b128 v52, v[16:19] offset:128
	ds_store_b128 v52, v[40:43] offset:144
	ds_store_b128 v52, v[48:51] offset:16
	ds_store_b128 v52, v[4:7]
	ds_store_b128 v52, v[44:47] offset:192
.LBB0_15:
	s_or_b32 exec_lo, exec_lo, s33
	v_lshl_add_u32 v48, v63, 4, 0
	global_wb scope:SCOPE_SE
	s_wait_dscnt 0x0
	s_barrier_signal -1
	s_barrier_wait -1
	global_inv scope:SCOPE_SE
	ds_load_b128 v[4:7], v48
	ds_load_b128 v[16:19], v48 offset:2496
	ds_load_b128 v[8:11], v48 offset:16224
	;; [unrolled: 1-line block ×9, first 2 shown]
	v_cmp_gt_u32_e64 s0, 0x4e, v63
	s_delay_alu instid0(VALU_DEP_1)
	s_and_saveexec_b32 s1, s0
	s_cbranch_execz .LBB0_17
; %bb.16:
	ds_load_b128 v[0:3], v48 offset:12480
	ds_load_b128 v[20:23], v48 offset:26208
.LBB0_17:
	s_wait_alu 0xfffe
	s_or_b32 exec_lo, exec_lo, s1
	v_and_b32_e32 v50, 0xff, v63
	v_add_nc_u32_e32 v53, 0x138, v63
	v_add_nc_u32_e32 v49, 0x9c, v63
	;; [unrolled: 1-line block ×4, first 2 shown]
	v_mul_lo_u16 v51, 0x4f, v50
	v_and_b32_e32 v52, 0xffff, v53
	v_add_nc_u32_e32 v56, 0x30c, v63
	v_and_b32_e32 v50, 0xffff, v49
	v_and_b32_e32 v57, 0xffff, v54
	v_lshrrev_b16 v94, 10, v51
	v_and_b32_e32 v58, 0xffff, v55
	v_mul_u32_u24_e32 v52, 0x4ec5, v52
	v_and_b32_e32 v59, 0xffff, v56
	v_mul_u32_u24_e32 v50, 0x4ec5, v50
	v_mul_lo_u16 v64, v94, 13
	v_mul_u32_u24_e32 v57, 0x4ec5, v57
	v_mul_u32_u24_e32 v58, 0x4ec5, v58
	v_lshrrev_b32_e32 v96, 18, v52
	v_mul_u32_u24_e32 v59, 0x4ec5, v59
	v_sub_nc_u16 v64, v63, v64
	v_lshrrev_b32_e32 v95, 18, v50
	v_lshrrev_b32_e32 v97, 18, v57
	;; [unrolled: 1-line block ×4, first 2 shown]
	v_and_b32_e32 v58, 0xff, v64
	v_mul_lo_u16 v64, v96, 13
	v_mul_lo_u16 v57, v95, 13
	;; [unrolled: 1-line block ×3, first 2 shown]
	s_delay_alu instid0(VALU_DEP_4) | instskip(NEXT) | instid1(VALU_DEP_4)
	v_lshlrev_b32_e32 v99, 4, v58
	v_sub_nc_u16 v53, v53, v64
	v_mul_lo_u16 v58, v98, 13
	v_mul_lo_u16 v64, v52, 13
	v_sub_nc_u16 v57, v49, v57
	v_sub_nc_u16 v54, v54, v59
	v_and_b32_e32 v53, 0xffff, v53
	v_sub_nc_u16 v55, v55, v58
	v_sub_nc_u16 v56, v56, v64
	v_and_b32_e32 v57, 0xffff, v57
	v_and_b32_e32 v58, 0xffff, v54
	v_lshlrev_b32_e32 v101, 4, v53
	v_and_b32_e32 v53, 0xffff, v55
	v_and_b32_e32 v59, 0xffff, v56
	v_lshlrev_b32_e32 v100, 4, v57
	v_lshlrev_b32_e32 v102, 4, v58
	global_load_b128 v[54:57], v99, s[4:5]
	v_lshlrev_b32_e32 v103, 4, v53
	v_lshlrev_b32_e32 v53, 4, v59
	s_clause 0x4
	global_load_b128 v[64:67], v100, s[4:5]
	global_load_b128 v[68:71], v101, s[4:5]
	;; [unrolled: 1-line block ×5, first 2 shown]
	global_wb scope:SCOPE_SE
	s_wait_loadcnt_dscnt 0x0
	s_barrier_signal -1
	s_barrier_wait -1
	global_inv scope:SCOPE_SE
	v_mul_f64_e32 v[58:59], v[46:47], v[56:57]
	v_mul_f64_e32 v[56:57], v[44:45], v[56:57]
	;; [unrolled: 1-line block ×12, first 2 shown]
	v_fma_f64 v[44:45], v[44:45], v[54:55], v[58:59]
	v_fma_f64 v[46:47], v[46:47], v[54:55], -v[56:57]
	v_fma_f64 v[8:9], v[8:9], v[64:65], v[84:85]
	v_fma_f64 v[10:11], v[10:11], v[64:65], -v[66:67]
	;; [unrolled: 2-line block ×6, first 2 shown]
	v_add_f64_e64 v[36:37], v[4:5], -v[44:45]
	v_add_f64_e64 v[38:39], v[6:7], -v[46:47]
	;; [unrolled: 1-line block ×12, first 2 shown]
	v_fma_f64 v[54:55], v[4:5], 2.0, -v[36:37]
	v_fma_f64 v[56:57], v[6:7], 2.0, -v[38:39]
	v_fma_f64 v[64:65], v[16:17], 2.0, -v[40:41]
	v_fma_f64 v[66:67], v[18:19], 2.0, -v[42:43]
	v_fma_f64 v[28:29], v[28:29], 2.0, -v[44:45]
	v_fma_f64 v[30:31], v[30:31], 2.0, -v[46:47]
	v_fma_f64 v[4:5], v[24:25], 2.0, -v[8:9]
	v_fma_f64 v[6:7], v[26:27], 2.0, -v[10:11]
	v_fma_f64 v[16:17], v[32:33], 2.0, -v[12:13]
	v_fma_f64 v[18:19], v[34:35], 2.0, -v[14:15]
	v_fma_f64 v[0:1], v[0:1], 2.0, -v[20:21]
	v_fma_f64 v[2:3], v[2:3], 2.0, -v[22:23]
	v_and_b32_e32 v24, 0xffff, v94
	v_mul_u32_u24_e32 v25, 0x1a0, v95
	v_mul_u32_u24_e32 v26, 0x1a0, v96
	v_mul_u32_u24_e32 v27, 0x1a0, v97
	v_mul_u32_u24_e32 v32, 0x1a0, v98
	v_mul_u32_u24_e32 v24, 0x1a0, v24
	v_add3_u32 v25, 0, v25, v100
	v_add3_u32 v26, 0, v26, v101
	;; [unrolled: 1-line block ×5, first 2 shown]
	ds_store_b128 v24, v[54:57]
	ds_store_b128 v24, v[36:39] offset:208
	ds_store_b128 v25, v[64:67]
	ds_store_b128 v25, v[40:43] offset:208
	;; [unrolled: 2-line block ×5, first 2 shown]
	s_and_saveexec_b32 s1, s0
	s_cbranch_execz .LBB0_19
; %bb.18:
	v_mul_lo_u16 v24, v52, 26
	s_delay_alu instid0(VALU_DEP_1) | instskip(NEXT) | instid1(VALU_DEP_1)
	v_and_b32_e32 v24, 0xffff, v24
	v_lshlrev_b32_e32 v24, 4, v24
	s_delay_alu instid0(VALU_DEP_1)
	v_add3_u32 v24, 0, v53, v24
	ds_store_b128 v24, v[0:3]
	ds_store_b128 v24, v[20:23] offset:208
.LBB0_19:
	s_wait_alu 0xfffe
	s_or_b32 exec_lo, exec_lo, s1
	global_wb scope:SCOPE_SE
	s_wait_dscnt 0x0
	s_barrier_signal -1
	s_barrier_wait -1
	global_inv scope:SCOPE_SE
	ds_load_b128 v[24:27], v48
	ds_load_b128 v[28:31], v48 offset:4576
	ds_load_b128 v[32:35], v48 offset:9152
	;; [unrolled: 1-line block ×5, first 2 shown]
	v_cmp_gt_u32_e64 s0, 0x82, v63
	s_delay_alu instid0(VALU_DEP_1)
	s_and_saveexec_b32 s1, s0
	s_cbranch_execz .LBB0_21
; %bb.20:
	ds_load_b128 v[4:7], v48 offset:2496
	ds_load_b128 v[8:11], v48 offset:7072
	;; [unrolled: 1-line block ×6, first 2 shown]
.LBB0_21:
	s_wait_alu 0xfffe
	s_or_b32 exec_lo, exec_lo, s1
	v_lshrrev_b16 v59, 11, v51
	s_mov_b32 s2, 0xe8584caa
	s_mov_b32 s3, 0xbfebb67a
	;; [unrolled: 1-line block ×3, first 2 shown]
	s_wait_alu 0xfffe
	s_mov_b32 s6, s2
	v_mul_lo_u16 v51, v59, 26
	s_delay_alu instid0(VALU_DEP_1) | instskip(NEXT) | instid1(VALU_DEP_1)
	v_sub_nc_u16 v51, v63, v51
	v_and_b32_e32 v82, 0xff, v51
	s_delay_alu instid0(VALU_DEP_1) | instskip(NEXT) | instid1(VALU_DEP_1)
	v_mul_u32_u24_e32 v51, 5, v82
	v_lshlrev_b32_e32 v72, 4, v51
	s_clause 0x4
	global_load_b128 v[51:54], v72, s[4:5] offset:240
	global_load_b128 v[55:58], v72, s[4:5] offset:272
	;; [unrolled: 1-line block ×5, first 2 shown]
	global_wb scope:SCOPE_SE
	s_wait_loadcnt_dscnt 0x0
	s_barrier_signal -1
	s_barrier_wait -1
	global_inv scope:SCOPE_SE
	v_mul_f64_e32 v[76:77], v[40:41], v[53:54]
	v_mul_f64_e32 v[78:79], v[44:45], v[57:58]
	;; [unrolled: 1-line block ×6, first 2 shown]
	v_fma_f64 v[42:43], v[42:43], v[51:52], -v[76:77]
	v_fma_f64 v[46:47], v[46:47], v[55:56], -v[78:79]
	v_mul_f64_e32 v[76:77], v[34:35], v[70:71]
	v_mul_f64_e32 v[70:71], v[32:33], v[70:71]
	;; [unrolled: 1-line block ×4, first 2 shown]
	v_fma_f64 v[40:41], v[40:41], v[51:52], v[53:54]
	v_fma_f64 v[44:45], v[44:45], v[55:56], v[57:58]
	v_fma_f64 v[30:31], v[30:31], v[64:65], -v[80:81]
	v_fma_f64 v[28:29], v[28:29], v[64:65], v[66:67]
	v_add_f64_e32 v[51:52], v[42:43], v[46:47]
	v_fma_f64 v[32:33], v[32:33], v[68:69], v[76:77]
	v_fma_f64 v[34:35], v[34:35], v[68:69], -v[70:71]
	v_fma_f64 v[36:37], v[36:37], v[72:73], v[78:79]
	v_fma_f64 v[38:39], v[38:39], v[72:73], -v[74:75]
	v_add_f64_e64 v[66:67], v[42:43], -v[46:47]
	v_add_f64_e32 v[53:54], v[40:41], v[44:45]
	v_add_f64_e64 v[55:56], v[40:41], -v[44:45]
	v_fma_f64 v[51:52], v[51:52], -0.5, v[30:31]
	v_add_f64_e32 v[30:31], v[30:31], v[42:43]
	v_add_f64_e32 v[57:58], v[32:33], v[36:37]
	;; [unrolled: 1-line block ×3, first 2 shown]
	v_add_f64_e64 v[70:71], v[34:35], -v[38:39]
	v_fma_f64 v[53:54], v[53:54], -0.5, v[28:29]
	v_add_f64_e32 v[34:35], v[26:27], v[34:35]
	v_add_f64_e32 v[28:29], v[28:29], v[40:41]
	s_wait_alu 0xfffe
	v_fma_f64 v[68:69], v[55:56], s[6:7], v[51:52]
	v_fma_f64 v[51:52], v[55:56], s[2:3], v[51:52]
	v_add_f64_e32 v[55:56], v[24:25], v[32:33]
	v_add_f64_e64 v[32:33], v[32:33], -v[36:37]
	v_fma_f64 v[24:25], v[57:58], -0.5, v[24:25]
	v_fma_f64 v[26:27], v[64:65], -0.5, v[26:27]
	v_fma_f64 v[40:41], v[66:67], s[2:3], v[53:54]
	v_fma_f64 v[42:43], v[66:67], s[6:7], v[53:54]
	v_add_f64_e32 v[34:35], v[34:35], v[38:39]
	v_add_f64_e32 v[28:29], v[28:29], v[44:45]
	;; [unrolled: 1-line block ×3, first 2 shown]
	v_mul_f64_e32 v[53:54], s[2:3], v[68:69]
	v_mul_f64_e32 v[64:65], 0.5, v[68:69]
	v_mul_f64_e32 v[57:58], s[2:3], v[51:52]
	v_mul_f64_e32 v[51:52], -0.5, v[51:52]
	v_add_f64_e32 v[36:37], v[55:56], v[36:37]
	v_fma_f64 v[44:45], v[70:71], s[2:3], v[24:25]
	v_fma_f64 v[55:56], v[32:33], s[6:7], v[26:27]
	;; [unrolled: 1-line block ×4, first 2 shown]
	v_add_f64_e32 v[26:27], v[34:35], v[30:31]
	v_add_f64_e64 v[30:31], v[34:35], -v[30:31]
	v_fma_f64 v[53:54], v[40:41], 0.5, v[53:54]
	v_fma_f64 v[64:65], v[40:41], s[6:7], v[64:65]
	v_fma_f64 v[57:58], v[42:43], -0.5, v[57:58]
	v_fma_f64 v[51:52], v[42:43], s[6:7], v[51:52]
	v_add_f64_e32 v[24:25], v[36:37], v[28:29]
	v_add_f64_e64 v[28:29], v[36:37], -v[28:29]
	v_add_f64_e32 v[32:33], v[44:45], v[53:54]
	v_add_f64_e32 v[34:35], v[55:56], v[64:65]
	;; [unrolled: 1-line block ×4, first 2 shown]
	v_add_f64_e64 v[40:41], v[44:45], -v[53:54]
	v_add_f64_e64 v[42:43], v[55:56], -v[64:65]
	;; [unrolled: 1-line block ×4, first 2 shown]
	v_and_b32_e32 v51, 0xffff, v59
	v_lshlrev_b32_e32 v52, 4, v82
	s_delay_alu instid0(VALU_DEP_2) | instskip(NEXT) | instid1(VALU_DEP_1)
	v_mul_u32_u24_e32 v51, 0x9c0, v51
	v_add3_u32 v51, 0, v51, v52
	ds_store_b128 v51, v[24:27]
	ds_store_b128 v51, v[32:35] offset:416
	ds_store_b128 v51, v[36:39] offset:832
	;; [unrolled: 1-line block ×5, first 2 shown]
	s_and_saveexec_b32 s1, s0
	s_cbranch_execz .LBB0_23
; %bb.22:
	v_lshrrev_b32_e32 v51, 19, v50
	s_delay_alu instid0(VALU_DEP_1) | instskip(NEXT) | instid1(VALU_DEP_1)
	v_mul_lo_u16 v24, v51, 26
	v_sub_nc_u16 v24, v49, v24
	s_delay_alu instid0(VALU_DEP_1) | instskip(NEXT) | instid1(VALU_DEP_1)
	v_and_b32_e32 v52, 0xffff, v24
	v_mul_u32_u24_e32 v24, 5, v52
	s_delay_alu instid0(VALU_DEP_1)
	v_lshlrev_b32_e32 v40, 4, v24
	s_clause 0x4
	global_load_b128 v[24:27], v40, s[4:5] offset:240
	global_load_b128 v[28:31], v40, s[4:5] offset:272
	;; [unrolled: 1-line block ×5, first 2 shown]
	s_wait_loadcnt 0x4
	v_mul_f64_e32 v[44:45], v[12:13], v[26:27]
	s_wait_loadcnt 0x3
	v_mul_f64_e32 v[46:47], v[20:21], v[30:31]
	v_mul_f64_e32 v[26:27], v[14:15], v[26:27]
	;; [unrolled: 1-line block ×3, first 2 shown]
	s_wait_loadcnt 0x2
	v_mul_f64_e32 v[49:50], v[8:9], v[34:35]
	v_mul_f64_e32 v[34:35], v[10:11], v[34:35]
	v_fma_f64 v[14:15], v[14:15], v[24:25], -v[44:45]
	v_fma_f64 v[22:23], v[22:23], v[28:29], -v[46:47]
	s_wait_loadcnt 0x1
	v_mul_f64_e32 v[44:45], v[16:17], v[38:39]
	s_wait_loadcnt 0x0
	v_mul_f64_e32 v[46:47], v[0:1], v[42:43]
	v_mul_f64_e32 v[38:39], v[18:19], v[38:39]
	;; [unrolled: 1-line block ×3, first 2 shown]
	v_fma_f64 v[12:13], v[12:13], v[24:25], v[26:27]
	v_fma_f64 v[20:21], v[20:21], v[28:29], v[30:31]
	v_fma_f64 v[10:11], v[10:11], v[32:33], -v[49:50]
	v_fma_f64 v[8:9], v[8:9], v[32:33], v[34:35]
	v_add_f64_e32 v[24:25], v[14:15], v[22:23]
	v_fma_f64 v[18:19], v[18:19], v[36:37], -v[44:45]
	v_fma_f64 v[2:3], v[2:3], v[40:41], -v[46:47]
	v_fma_f64 v[16:17], v[16:17], v[36:37], v[38:39]
	v_fma_f64 v[0:1], v[0:1], v[40:41], v[42:43]
	v_add_f64_e64 v[32:33], v[14:15], -v[22:23]
	v_add_f64_e32 v[26:27], v[12:13], v[20:21]
	v_add_f64_e64 v[28:29], v[12:13], -v[20:21]
	v_fma_f64 v[24:25], v[24:25], -0.5, v[10:11]
	v_add_f64_e32 v[38:39], v[6:7], v[18:19]
	v_add_f64_e32 v[30:31], v[18:19], v[2:3]
	v_add_f64_e32 v[10:11], v[10:11], v[14:15]
	v_add_f64_e32 v[34:35], v[16:17], v[0:1]
	v_add_f64_e64 v[14:15], v[18:19], -v[2:3]
	v_fma_f64 v[26:27], v[26:27], -0.5, v[8:9]
	v_add_f64_e32 v[8:9], v[8:9], v[12:13]
	v_fma_f64 v[36:37], v[28:29], s[2:3], v[24:25]
	v_fma_f64 v[24:25], v[28:29], s[6:7], v[24:25]
	v_add_f64_e64 v[28:29], v[16:17], -v[0:1]
	v_add_f64_e32 v[16:17], v[4:5], v[16:17]
	v_fma_f64 v[6:7], v[30:31], -0.5, v[6:7]
	v_fma_f64 v[4:5], v[34:35], -0.5, v[4:5]
	v_fma_f64 v[12:13], v[32:33], s[6:7], v[26:27]
	v_fma_f64 v[26:27], v[32:33], s[2:3], v[26:27]
	v_add_f64_e32 v[34:35], v[38:39], v[2:3]
	v_add_f64_e32 v[10:11], v[10:11], v[22:23]
	;; [unrolled: 1-line block ×3, first 2 shown]
	v_mul_f64_e32 v[18:19], -0.5, v[36:37]
	v_mul_f64_e32 v[30:31], 0.5, v[24:25]
	v_mul_f64_e32 v[24:25], s[2:3], v[24:25]
	v_mul_f64_e32 v[32:33], s[2:3], v[36:37]
	v_add_f64_e32 v[16:17], v[16:17], v[0:1]
	v_fma_f64 v[20:21], v[28:29], s[2:3], v[6:7]
	v_fma_f64 v[22:23], v[28:29], s[6:7], v[6:7]
	v_fma_f64 v[36:37], v[14:15], s[2:3], v[4:5]
	v_fma_f64 v[28:29], v[14:15], s[6:7], v[4:5]
	v_add_f64_e32 v[6:7], v[34:35], v[10:11]
	v_add_f64_e64 v[2:3], v[34:35], -v[10:11]
	v_fma_f64 v[18:19], v[12:13], s[6:7], v[18:19]
	v_fma_f64 v[30:31], v[26:27], s[6:7], v[30:31]
	v_fma_f64 v[24:25], v[26:27], 0.5, v[24:25]
	v_fma_f64 v[26:27], v[12:13], -0.5, v[32:33]
	v_add_f64_e32 v[4:5], v[16:17], v[8:9]
	v_add_f64_e64 v[0:1], v[16:17], -v[8:9]
	v_add_f64_e64 v[10:11], v[20:21], -v[18:19]
	v_add_f64_e32 v[14:15], v[20:21], v[18:19]
	v_add_f64_e32 v[18:19], v[22:23], v[30:31]
	;; [unrolled: 1-line block ×4, first 2 shown]
	v_add_f64_e64 v[22:23], v[22:23], -v[30:31]
	v_add_f64_e64 v[20:21], v[36:37], -v[24:25]
	v_add_f64_e64 v[8:9], v[28:29], -v[26:27]
	v_mul_lo_u16 v24, 0x9c, v51
	v_lshlrev_b32_e32 v25, 4, v52
	s_delay_alu instid0(VALU_DEP_2) | instskip(NEXT) | instid1(VALU_DEP_1)
	v_and_b32_e32 v24, 0xffff, v24
	v_lshlrev_b32_e32 v24, 4, v24
	s_delay_alu instid0(VALU_DEP_1)
	v_add3_u32 v24, 0, v25, v24
	ds_store_b128 v24, v[4:7]
	ds_store_b128 v24, v[16:19] offset:416
	ds_store_b128 v24, v[12:15] offset:832
	;; [unrolled: 1-line block ×5, first 2 shown]
.LBB0_23:
	s_wait_alu 0xfffe
	s_or_b32 exec_lo, exec_lo, s1
	global_wb scope:SCOPE_SE
	s_wait_dscnt 0x0
	s_barrier_signal -1
	s_barrier_wait -1
	global_inv scope:SCOPE_SE
	s_and_saveexec_b32 s0, vcc_lo
	s_cbranch_execz .LBB0_25
; %bb.24:
	v_mul_u32_u24_e32 v0, 10, v63
	s_mov_b32 s16, 0xbb3a28a1
	s_mov_b32 s20, 0xfd768dbf
	;; [unrolled: 1-line block ×4, first 2 shown]
	v_lshlrev_b32_e32 v16, 4, v0
	s_mov_b32 s15, 0x3fed1bb4
	s_mov_b32 s14, 0x8eee2c13
	;; [unrolled: 1-line block ×4, first 2 shown]
	s_clause 0x9
	global_load_b128 v[0:3], v16, s[4:5] offset:2288
	global_load_b128 v[4:7], v16, s[4:5] offset:2352
	;; [unrolled: 1-line block ×10, first 2 shown]
	ds_load_b128 v[42:45], v48 offset:2496
	ds_load_b128 v[49:52], v48 offset:12480
	;; [unrolled: 1-line block ×10, first 2 shown]
	s_mov_b32 s13, 0xbfefac9e
	s_mov_b32 s19, 0x3fe14ced
	;; [unrolled: 1-line block ×3, first 2 shown]
	s_wait_alu 0xfffe
	s_mov_b32 s22, s18
	s_mov_b32 s4, 0x7f775887
	;; [unrolled: 1-line block ×15, first 2 shown]
	s_wait_loadcnt_dscnt 0x909
	v_mul_f64_e32 v[16:17], v[42:43], v[2:3]
	v_mul_f64_e32 v[2:3], v[2:3], v[44:45]
	s_wait_loadcnt_dscnt 0x808
	v_mul_f64_e32 v[46:47], v[6:7], v[51:52]
	s_wait_loadcnt_dscnt 0x707
	v_mul_f64_e32 v[57:58], v[10:11], v[55:56]
	v_mul_f64_e32 v[6:7], v[49:50], v[6:7]
	v_mul_f64_e32 v[10:11], v[53:54], v[10:11]
	s_wait_loadcnt_dscnt 0x606
	v_mul_f64_e32 v[91:92], v[14:15], v[65:66]
	s_wait_loadcnt_dscnt 0x505
	v_mul_f64_e32 v[93:94], v[20:21], v[69:70]
	;; [unrolled: 6-line block ×3, first 2 shown]
	s_wait_loadcnt_dscnt 0x202
	v_mul_f64_e32 v[99:100], v[32:33], v[81:82]
	v_mul_f64_e32 v[24:25], v[71:72], v[24:25]
	;; [unrolled: 1-line block ×4, first 2 shown]
	s_wait_loadcnt_dscnt 0x0
	v_mul_f64_e32 v[103:104], v[40:41], v[89:90]
	v_mul_f64_e32 v[40:41], v[87:88], v[40:41]
	;; [unrolled: 1-line block ×4, first 2 shown]
	v_fma_f64 v[44:45], v[0:1], v[44:45], -v[16:17]
	v_fma_f64 v[42:43], v[0:1], v[42:43], v[2:3]
	ds_load_b128 v[0:3], v48
	v_fma_f64 v[46:47], v[4:5], v[49:50], v[46:47]
	v_fma_f64 v[48:49], v[8:9], v[53:54], v[57:58]
	v_fma_f64 v[50:51], v[4:5], v[51:52], -v[6:7]
	v_fma_f64 v[52:53], v[8:9], v[55:56], -v[10:11]
	v_fma_f64 v[54:55], v[12:13], v[63:64], v[91:92]
	v_fma_f64 v[16:17], v[18:19], v[67:68], v[93:94]
	v_fma_f64 v[56:57], v[12:13], v[65:66], -v[14:15]
	v_fma_f64 v[18:19], v[18:19], v[69:70], -v[20:21]
	v_fma_f64 v[20:21], v[22:23], v[71:72], v[95:96]
	v_fma_f64 v[12:13], v[26:27], v[75:76], v[97:98]
	;; [unrolled: 1-line block ×3, first 2 shown]
	v_fma_f64 v[22:23], v[22:23], v[73:74], -v[24:25]
	v_fma_f64 v[14:15], v[26:27], v[77:78], -v[28:29]
	;; [unrolled: 1-line block ×3, first 2 shown]
	v_fma_f64 v[4:5], v[38:39], v[87:88], v[103:104]
	v_fma_f64 v[6:7], v[38:39], v[89:90], -v[40:41]
	v_fma_f64 v[8:9], v[34:35], v[83:84], v[101:102]
	v_fma_f64 v[10:11], v[34:35], v[85:86], -v[36:37]
	s_wait_dscnt 0x0
	v_add_f64_e32 v[26:27], v[2:3], v[44:45]
	v_add_f64_e32 v[28:29], v[42:43], v[0:1]
	v_add_f64_e64 v[30:31], v[46:47], -v[48:49]
	v_add_f64_e32 v[77:78], v[46:47], v[48:49]
	v_add_f64_e64 v[40:41], v[50:51], -v[52:53]
	;; [unrolled: 2-line block ×7, first 2 shown]
	v_add_f64_e64 v[69:70], v[44:45], -v[6:7]
	v_add_f64_e64 v[36:37], v[58:59], -v[8:9]
	v_add_f64_e64 v[67:68], v[24:25], -v[10:11]
	v_add_f64_e32 v[44:45], v[44:45], v[6:7]
	v_add_f64_e32 v[42:43], v[42:43], v[4:5]
	v_add_f64_e32 v[26:27], v[24:25], v[26:27]
	v_add_f64_e32 v[28:29], v[58:59], v[28:29]
	v_add_f64_e32 v[24:25], v[24:25], v[10:11]
	v_add_f64_e32 v[58:59], v[58:59], v[8:9]
	v_mul_f64_e32 v[103:104], s[14:15], v[30:31]
	v_mul_f64_e32 v[83:84], s[12:13], v[30:31]
	;; [unrolled: 1-line block ×9, first 2 shown]
	s_wait_alu 0xfffe
	v_mul_f64_e32 v[107:108], s[22:23], v[34:35]
	v_mul_f64_e32 v[87:88], s[16:17], v[34:35]
	;; [unrolled: 1-line block ×3, first 2 shown]
	s_mov_b32 s15, 0xbfed1bb4
	v_mul_f64_e32 v[91:92], s[20:21], v[38:39]
	v_mul_f64_e32 v[117:118], s[16:17], v[69:70]
	;; [unrolled: 1-line block ×6, first 2 shown]
	s_wait_alu 0xfffe
	v_mul_f64_e32 v[157:158], s[14:15], v[69:70]
	v_mul_f64_e32 v[69:70], s[22:23], v[69:70]
	;; [unrolled: 1-line block ×15, first 2 shown]
	v_add_f64_e32 v[22:23], v[22:23], v[26:27]
	v_add_f64_e32 v[20:21], v[20:21], v[28:29]
	v_mul_f64_e32 v[28:29], s[16:17], v[38:39]
	v_mul_f64_e32 v[38:39], s[14:15], v[38:39]
	;; [unrolled: 1-line block ×12, first 2 shown]
	v_fma_f64 v[159:160], v[75:76], s[4:5], v[87:88]
	v_fma_f64 v[87:88], v[75:76], s[4:5], -v[87:88]
	v_mul_f64_e32 v[139:140], s[18:19], v[30:31]
	v_fma_f64 v[163:164], v[44:45], s[2:3], v[91:92]
	v_fma_f64 v[177:178], v[42:43], s[4:5], -v[117:118]
	v_fma_f64 v[117:118], v[42:43], s[4:5], v[117:118]
	v_fma_f64 v[173:174], v[42:43], s[2:3], -v[101:102]
	v_fma_f64 v[91:92], v[44:45], s[2:3], -v[91:92]
	v_fma_f64 v[101:102], v[42:43], s[2:3], v[101:102]
	v_fma_f64 v[179:180], v[44:45], s[10:11], v[127:128]
	v_fma_f64 v[181:182], v[42:43], s[10:11], -v[137:138]
	v_fma_f64 v[127:128], v[44:45], s[10:11], -v[127:128]
	v_fma_f64 v[183:184], v[44:45], s[6:7], v[155:156]
	v_fma_f64 v[155:156], v[44:45], s[6:7], -v[155:156]
	v_fma_f64 v[187:188], v[42:43], s[0:1], v[157:158]
	v_fma_f64 v[137:138], v[42:43], s[10:11], v[137:138]
	;; [unrolled: 1-line block ×3, first 2 shown]
	v_fma_f64 v[89:90], v[24:25], s[6:7], -v[89:90]
	v_fma_f64 v[191:192], v[24:25], s[4:5], v[145:146]
	v_fma_f64 v[145:146], v[24:25], s[4:5], -v[145:146]
	v_fma_f64 v[171:172], v[58:59], s[6:7], -v[99:100]
	v_fma_f64 v[99:100], v[58:59], s[6:7], v[99:100]
	v_fma_f64 v[189:190], v[58:59], s[2:3], -v[135:136]
	v_fma_f64 v[135:136], v[58:59], s[2:3], v[135:136]
	v_add_f64_e32 v[22:23], v[56:57], v[22:23]
	v_add_f64_e32 v[20:21], v[54:55], v[20:21]
	v_mul_f64_e32 v[54:55], s[14:15], v[67:68]
	v_fma_f64 v[175:176], v[44:45], s[4:5], v[28:29]
	v_fma_f64 v[28:29], v[44:45], s[4:5], -v[28:29]
	v_fma_f64 v[185:186], v[44:45], s[0:1], -v[38:39]
	v_fma_f64 v[38:39], v[44:45], s[0:1], v[38:39]
	v_fma_f64 v[44:45], v[42:43], s[0:1], -v[157:158]
	v_fma_f64 v[157:158], v[24:25], s[2:3], v[125:126]
	;; [unrolled: 2-line block ×5, first 2 shown]
	v_fma_f64 v[199:200], v[75:76], s[10:11], v[34:35]
	v_fma_f64 v[201:202], v[81:82], s[10:11], -v[65:66]
	v_fma_f64 v[34:35], v[75:76], s[10:11], -v[34:35]
	v_fma_f64 v[65:66], v[81:82], s[10:11], v[65:66]
	v_add_f64_e32 v[117:118], v[0:1], v[117:118]
	v_mul_f64_e32 v[147:148], s[18:19], v[40:41]
	v_add_f64_e32 v[91:92], v[2:3], v[91:92]
	v_add_f64_e32 v[101:102], v[0:1], v[101:102]
	v_mul_f64_e32 v[30:31], s[20:21], v[30:31]
	v_mul_f64_e32 v[40:41], s[20:21], v[40:41]
	v_add_f64_e32 v[127:128], v[2:3], v[127:128]
	v_fma_f64 v[67:68], v[73:74], s[0:1], v[85:86]
	v_add_f64_e32 v[155:156], v[2:3], v[155:156]
	v_fma_f64 v[167:168], v[79:80], s[0:1], -v[95:96]
	v_add_f64_e32 v[137:138], v[0:1], v[137:138]
	v_fma_f64 v[85:86], v[73:74], s[0:1], -v[85:86]
	v_fma_f64 v[95:96], v[79:80], s[0:1], v[95:96]
	v_fma_f64 v[56:57], v[71:72], s[10:11], v[83:84]
	v_fma_f64 v[165:166], v[77:78], s[10:11], -v[93:94]
	v_fma_f64 v[83:84], v[71:72], s[10:11], -v[83:84]
	v_fma_f64 v[93:94], v[77:78], s[10:11], v[93:94]
	v_add_f64_e32 v[22:23], v[50:51], v[22:23]
	v_add_f64_e32 v[20:21], v[46:47], v[20:21]
	v_fma_f64 v[46:47], v[42:43], s[6:7], v[69:70]
	v_fma_f64 v[42:43], v[42:43], s[6:7], -v[69:70]
	v_fma_f64 v[50:51], v[24:25], s[10:11], v[26:27]
	v_fma_f64 v[69:70], v[58:59], s[10:11], -v[115:116]
	v_fma_f64 v[26:27], v[24:25], s[10:11], -v[26:27]
	v_fma_f64 v[115:116], v[58:59], s[10:11], v[115:116]
	v_fma_f64 v[197:198], v[58:59], s[0:1], -v[54:55]
	v_fma_f64 v[24:25], v[24:25], s[0:1], -v[36:37]
	v_fma_f64 v[36:37], v[58:59], s[0:1], v[54:55]
	v_add_f64_e32 v[54:55], v[2:3], v[163:164]
	v_add_f64_e32 v[163:164], v[2:3], v[175:176]
	;; [unrolled: 1-line block ×12, first 2 shown]
	v_fma_f64 v[185:186], v[75:76], s[2:3], v[143:144]
	v_fma_f64 v[187:188], v[81:82], s[2:3], -v[151:152]
	v_fma_f64 v[143:144], v[75:76], s[2:3], -v[143:144]
	v_fma_f64 v[151:152], v[81:82], s[2:3], v[151:152]
	v_add_f64_e32 v[22:23], v[52:53], v[22:23]
	v_add_f64_e32 v[20:21], v[48:49], v[20:21]
	;; [unrolled: 1-line block ×4, first 2 shown]
	v_fma_f64 v[42:43], v[75:76], s[6:7], v[107:108]
	v_fma_f64 v[48:49], v[75:76], s[6:7], -v[107:108]
	v_fma_f64 v[52:53], v[81:82], s[6:7], v[113:114]
	v_fma_f64 v[46:47], v[81:82], s[6:7], -v[113:114]
	;; [unrolled: 2-line block ×3, first 2 shown]
	v_fma_f64 v[123:124], v[75:76], s[0:1], -v[123:124]
	v_fma_f64 v[133:134], v[81:82], s[0:1], v[133:134]
	v_add_f64_e32 v[50:51], v[50:51], v[163:164]
	v_add_f64_e32 v[26:27], v[26:27], v[28:29]
	;; [unrolled: 1-line block ×18, first 2 shown]
	v_fma_f64 v[135:136], v[73:74], s[10:11], v[141:142]
	v_fma_f64 v[137:138], v[79:80], s[10:11], -v[149:150]
	v_fma_f64 v[141:142], v[73:74], s[10:11], -v[141:142]
	v_fma_f64 v[145:146], v[79:80], s[10:11], v[149:150]
	v_fma_f64 v[149:150], v[73:74], s[4:5], v[32:33]
	v_fma_f64 v[32:33], v[73:74], s[4:5], -v[32:33]
	v_fma_f64 v[127:128], v[79:80], s[6:7], -v[131:132]
	v_fma_f64 v[131:132], v[79:80], s[6:7], v[131:132]
	v_add_f64_e32 v[18:19], v[18:19], v[22:23]
	v_add_f64_e32 v[16:17], v[16:17], v[20:21]
	;; [unrolled: 1-line block ×4, first 2 shown]
	v_fma_f64 v[22:23], v[73:74], s[2:3], v[105:106]
	v_fma_f64 v[44:45], v[73:74], s[2:3], -v[105:106]
	v_fma_f64 v[105:106], v[79:80], s[2:3], v[111:112]
	v_fma_f64 v[36:37], v[79:80], s[2:3], -v[111:112]
	;; [unrolled: 2-line block ×3, first 2 shown]
	v_fma_f64 v[153:154], v[79:80], s[4:5], -v[63:64]
	v_fma_f64 v[63:64], v[79:80], s[4:5], v[63:64]
	v_add_f64_e32 v[42:43], v[42:43], v[50:51]
	v_add_f64_e32 v[26:27], v[48:49], v[26:27]
	;; [unrolled: 1-line block ×18, first 2 shown]
	v_fma_f64 v[87:88], v[77:78], s[0:1], v[109:110]
	v_fma_f64 v[89:90], v[71:72], s[4:5], v[119:120]
	v_fma_f64 v[91:92], v[77:78], s[4:5], -v[129:130]
	v_fma_f64 v[97:98], v[71:72], s[4:5], -v[119:120]
	v_fma_f64 v[99:100], v[77:78], s[4:5], v[129:130]
	v_fma_f64 v[101:102], v[71:72], s[6:7], v[139:140]
	v_fma_f64 v[107:108], v[71:72], s[6:7], -v[139:140]
	v_fma_f64 v[113:114], v[71:72], s[2:3], v[30:31]
	v_add_f64_e32 v[14:15], v[14:15], v[18:19]
	v_add_f64_e32 v[12:13], v[12:13], v[16:17]
	v_add_f64_e32 v[16:17], v[65:66], v[20:21]
	v_add_f64_e32 v[0:1], v[201:202], v[0:1]
	v_fma_f64 v[18:19], v[71:72], s[0:1], v[103:104]
	v_fma_f64 v[65:66], v[71:72], s[0:1], -v[103:104]
	v_fma_f64 v[20:21], v[77:78], s[0:1], -v[109:110]
	;; [unrolled: 1-line block ×3, first 2 shown]
	v_fma_f64 v[109:110], v[77:78], s[6:7], v[147:148]
	v_fma_f64 v[115:116], v[77:78], s[2:3], -v[40:41]
	v_fma_f64 v[71:72], v[71:72], s[2:3], -v[30:31]
	v_fma_f64 v[77:78], v[77:78], s[2:3], v[40:41]
	v_add_f64_e32 v[22:23], v[22:23], v[42:43]
	v_add_f64_e32 v[26:27], v[44:45], v[26:27]
	;; [unrolled: 1-line block ×40, first 2 shown]
	v_lshlrev_b64_e32 v[44:45], 4, v[60:61]
	s_delay_alu instid0(VALU_DEP_1)
	v_add_co_u32 v44, vcc_lo, s8, v44
	v_add_f64_e32 v[6:7], v[6:7], v[75:76]
	v_add_f64_e32 v[4:5], v[4:5], v[79:80]
	;; [unrolled: 1-line block ×3, first 2 shown]
	v_mov_b32_e32 v63, 0
	v_add_f64_e32 v[28:29], v[115:116], v[81:82]
	s_wait_alu 0xfffd
	v_add_co_ci_u32_e32 v45, vcc_lo, s9, v45, vcc_lo
	s_delay_alu instid0(VALU_DEP_3) | instskip(NEXT) | instid1(VALU_DEP_1)
	v_lshlrev_b64_e32 v[46:47], 4, v[62:63]
	v_add_co_u32 v44, vcc_lo, v44, v46
	s_wait_alu 0xfffd
	s_delay_alu instid0(VALU_DEP_2)
	v_add_co_ci_u32_e32 v45, vcc_lo, v45, v47, vcc_lo
	s_clause 0xa
	global_store_b128 v[44:45], v[16:19], off offset:9984
	global_store_b128 v[44:45], v[8:11], off offset:12480
	;; [unrolled: 1-line block ×8, first 2 shown]
	global_store_b128 v[44:45], v[4:7], off
	global_store_b128 v[44:45], v[32:35], off offset:2496
	global_store_b128 v[44:45], v[28:31], off offset:24960
.LBB0_25:
	s_nop 0
	s_sendmsg sendmsg(MSG_DEALLOC_VGPRS)
	s_endpgm
	.section	.rodata,"a",@progbits
	.p2align	6, 0x0
	.amdhsa_kernel fft_rtc_back_len1716_factors_13_2_6_11_wgs_156_tpt_156_dp_ip_CI_unitstride_sbrr_dirReg
		.amdhsa_group_segment_fixed_size 0
		.amdhsa_private_segment_fixed_size 0
		.amdhsa_kernarg_size 88
		.amdhsa_user_sgpr_count 2
		.amdhsa_user_sgpr_dispatch_ptr 0
		.amdhsa_user_sgpr_queue_ptr 0
		.amdhsa_user_sgpr_kernarg_segment_ptr 1
		.amdhsa_user_sgpr_dispatch_id 0
		.amdhsa_user_sgpr_private_segment_size 0
		.amdhsa_wavefront_size32 1
		.amdhsa_uses_dynamic_stack 0
		.amdhsa_enable_private_segment 0
		.amdhsa_system_sgpr_workgroup_id_x 1
		.amdhsa_system_sgpr_workgroup_id_y 0
		.amdhsa_system_sgpr_workgroup_id_z 0
		.amdhsa_system_sgpr_workgroup_info 0
		.amdhsa_system_vgpr_workitem_id 0
		.amdhsa_next_free_vgpr 218
		.amdhsa_next_free_sgpr 42
		.amdhsa_reserve_vcc 1
		.amdhsa_float_round_mode_32 0
		.amdhsa_float_round_mode_16_64 0
		.amdhsa_float_denorm_mode_32 3
		.amdhsa_float_denorm_mode_16_64 3
		.amdhsa_fp16_overflow 0
		.amdhsa_workgroup_processor_mode 1
		.amdhsa_memory_ordered 1
		.amdhsa_forward_progress 0
		.amdhsa_round_robin_scheduling 0
		.amdhsa_exception_fp_ieee_invalid_op 0
		.amdhsa_exception_fp_denorm_src 0
		.amdhsa_exception_fp_ieee_div_zero 0
		.amdhsa_exception_fp_ieee_overflow 0
		.amdhsa_exception_fp_ieee_underflow 0
		.amdhsa_exception_fp_ieee_inexact 0
		.amdhsa_exception_int_div_zero 0
	.end_amdhsa_kernel
	.text
.Lfunc_end0:
	.size	fft_rtc_back_len1716_factors_13_2_6_11_wgs_156_tpt_156_dp_ip_CI_unitstride_sbrr_dirReg, .Lfunc_end0-fft_rtc_back_len1716_factors_13_2_6_11_wgs_156_tpt_156_dp_ip_CI_unitstride_sbrr_dirReg
                                        ; -- End function
	.section	.AMDGPU.csdata,"",@progbits
; Kernel info:
; codeLenInByte = 9520
; NumSgprs: 44
; NumVgprs: 218
; ScratchSize: 0
; MemoryBound: 1
; FloatMode: 240
; IeeeMode: 1
; LDSByteSize: 0 bytes/workgroup (compile time only)
; SGPRBlocks: 5
; VGPRBlocks: 27
; NumSGPRsForWavesPerEU: 44
; NumVGPRsForWavesPerEU: 218
; Occupancy: 6
; WaveLimiterHint : 1
; COMPUTE_PGM_RSRC2:SCRATCH_EN: 0
; COMPUTE_PGM_RSRC2:USER_SGPR: 2
; COMPUTE_PGM_RSRC2:TRAP_HANDLER: 0
; COMPUTE_PGM_RSRC2:TGID_X_EN: 1
; COMPUTE_PGM_RSRC2:TGID_Y_EN: 0
; COMPUTE_PGM_RSRC2:TGID_Z_EN: 0
; COMPUTE_PGM_RSRC2:TIDIG_COMP_CNT: 0
	.text
	.p2alignl 7, 3214868480
	.fill 96, 4, 3214868480
	.type	__hip_cuid_67dae2b14faa858f,@object ; @__hip_cuid_67dae2b14faa858f
	.section	.bss,"aw",@nobits
	.globl	__hip_cuid_67dae2b14faa858f
__hip_cuid_67dae2b14faa858f:
	.byte	0                               ; 0x0
	.size	__hip_cuid_67dae2b14faa858f, 1

	.ident	"AMD clang version 19.0.0git (https://github.com/RadeonOpenCompute/llvm-project roc-6.4.0 25133 c7fe45cf4b819c5991fe208aaa96edf142730f1d)"
	.section	".note.GNU-stack","",@progbits
	.addrsig
	.addrsig_sym __hip_cuid_67dae2b14faa858f
	.amdgpu_metadata
---
amdhsa.kernels:
  - .args:
      - .actual_access:  read_only
        .address_space:  global
        .offset:         0
        .size:           8
        .value_kind:     global_buffer
      - .offset:         8
        .size:           8
        .value_kind:     by_value
      - .actual_access:  read_only
        .address_space:  global
        .offset:         16
        .size:           8
        .value_kind:     global_buffer
      - .actual_access:  read_only
        .address_space:  global
        .offset:         24
        .size:           8
        .value_kind:     global_buffer
      - .offset:         32
        .size:           8
        .value_kind:     by_value
      - .actual_access:  read_only
        .address_space:  global
        .offset:         40
        .size:           8
        .value_kind:     global_buffer
      - .actual_access:  read_only
        .address_space:  global
        .offset:         48
        .size:           8
        .value_kind:     global_buffer
      - .offset:         56
        .size:           4
        .value_kind:     by_value
      - .actual_access:  read_only
        .address_space:  global
        .offset:         64
        .size:           8
        .value_kind:     global_buffer
      - .actual_access:  read_only
        .address_space:  global
        .offset:         72
        .size:           8
        .value_kind:     global_buffer
      - .address_space:  global
        .offset:         80
        .size:           8
        .value_kind:     global_buffer
    .group_segment_fixed_size: 0
    .kernarg_segment_align: 8
    .kernarg_segment_size: 88
    .language:       OpenCL C
    .language_version:
      - 2
      - 0
    .max_flat_workgroup_size: 156
    .name:           fft_rtc_back_len1716_factors_13_2_6_11_wgs_156_tpt_156_dp_ip_CI_unitstride_sbrr_dirReg
    .private_segment_fixed_size: 0
    .sgpr_count:     44
    .sgpr_spill_count: 0
    .symbol:         fft_rtc_back_len1716_factors_13_2_6_11_wgs_156_tpt_156_dp_ip_CI_unitstride_sbrr_dirReg.kd
    .uniform_work_group_size: 1
    .uses_dynamic_stack: false
    .vgpr_count:     218
    .vgpr_spill_count: 0
    .wavefront_size: 32
    .workgroup_processor_mode: 1
amdhsa.target:   amdgcn-amd-amdhsa--gfx1201
amdhsa.version:
  - 1
  - 2
...

	.end_amdgpu_metadata
